;; amdgpu-corpus repo=ROCm/rocFFT kind=compiled arch=gfx1030 opt=O3
	.text
	.amdgcn_target "amdgcn-amd-amdhsa--gfx1030"
	.amdhsa_code_object_version 6
	.protected	bluestein_single_fwd_len70_dim1_sp_op_CI_CI ; -- Begin function bluestein_single_fwd_len70_dim1_sp_op_CI_CI
	.globl	bluestein_single_fwd_len70_dim1_sp_op_CI_CI
	.p2align	8
	.type	bluestein_single_fwd_len70_dim1_sp_op_CI_CI,@function
bluestein_single_fwd_len70_dim1_sp_op_CI_CI: ; @bluestein_single_fwd_len70_dim1_sp_op_CI_CI
; %bb.0:
	s_load_dwordx4 s[8:11], s[4:5], 0x28
	v_mul_u32_u24_e32 v1, 0x124a, v0
	s_mov_b32 s0, exec_lo
	v_lshrrev_b32_e32 v1, 16, v1
	v_mad_u64_u32 v[32:33], null, s6, 18, v[1:2]
	v_mov_b32_e32 v33, 0
	s_waitcnt lgkmcnt(0)
	v_cmpx_gt_u64_e64 s[8:9], v[32:33]
	s_cbranch_execz .LBB0_23
; %bb.1:
	s_clause 0x1
	s_load_dwordx4 s[0:3], s[4:5], 0x18
	s_load_dwordx2 s[16:17], s[4:5], 0x0
	v_mul_lo_u16 v1, v1, 14
	v_mul_hi_u32 v10, 0x38e38e39, v32
	v_sub_nc_u16 v14, v0, v1
	v_lshrrev_b32_e32 v10, 2, v10
	v_and_b32_e32 v45, 0xffff, v14
	v_mul_lo_u32 v10, v10, 18
	v_lshlrev_b32_e32 v48, 3, v45
	s_waitcnt lgkmcnt(0)
	s_load_dwordx4 s[12:15], s[0:1], 0x0
	s_clause 0x1
	global_load_dwordx2 v[35:36], v48, s[16:17]
	global_load_dwordx2 v[37:38], v48, s[16:17] offset:280
	v_sub_nc_u32_e32 v10, v32, v10
	v_mul_u32_u24_e32 v10, 0x46, v10
	v_lshlrev_b32_e32 v47, 3, v10
	v_add_nc_u32_e32 v46, v48, v47
	s_waitcnt lgkmcnt(0)
	v_mad_u64_u32 v[0:1], null, s14, v32, 0
	v_mad_u64_u32 v[2:3], null, s12, v45, 0
	s_mul_i32 s1, s13, 35
	s_mul_hi_u32 s7, s12, 35
	s_mul_i32 s0, s12, 35
	s_mul_hi_u32 s9, s12, 0xffffffeb
	s_add_i32 s1, s7, s1
	s_mul_i32 s8, s13, 0xffffffeb
	v_mad_u64_u32 v[4:5], null, s15, v32, v[1:2]
	s_mul_i32 s6, s12, 0xffffffeb
	s_sub_i32 s7, s9, s12
	s_add_i32 s7, s7, s8
	v_mad_u64_u32 v[5:6], null, s13, v45, v[3:4]
	v_mov_b32_e32 v1, v4
	s_lshl_b64 s[12:13], s[0:1], 3
	s_lshl_b64 s[0:1], s[6:7], 3
	v_lshlrev_b64 v[0:1], 3, v[0:1]
	v_mov_b32_e32 v3, v5
	v_add_co_u32 v0, vcc_lo, s10, v0
	v_lshlrev_b64 v[2:3], 3, v[2:3]
	v_add_co_ci_u32_e32 v1, vcc_lo, s11, v1, vcc_lo
	v_add_co_u32 v0, vcc_lo, v0, v2
	v_add_co_ci_u32_e32 v1, vcc_lo, v1, v3, vcc_lo
	v_add_co_u32 v2, vcc_lo, v0, s12
	v_add_co_ci_u32_e32 v3, vcc_lo, s13, v1, vcc_lo
	global_load_dwordx2 v[4:5], v[0:1], off
	v_add_co_u32 v6, vcc_lo, v2, s0
	v_add_co_ci_u32_e32 v7, vcc_lo, s1, v3, vcc_lo
	global_load_dwordx2 v[2:3], v[2:3], off
	v_add_co_u32 v0, vcc_lo, v6, s12
	v_add_co_ci_u32_e32 v1, vcc_lo, s13, v7, vcc_lo
	s_clause 0x1
	global_load_dwordx2 v[39:40], v48, s[16:17] offset:392
	global_load_dwordx2 v[41:42], v48, s[16:17] offset:112
	s_clause 0x1
	global_load_dwordx2 v[6:7], v[6:7], off
	global_load_dwordx2 v[8:9], v[0:1], off
	s_load_dwordx2 s[6:7], s[4:5], 0x38
	s_load_dwordx4 s[8:11], s[2:3], 0x0
	v_add_co_u32 v33, s2, s16, v48
	v_add_co_ci_u32_e64 v34, null, s17, 0, s2
	v_cmp_gt_u16_e32 vcc_lo, 7, v14
	s_waitcnt vmcnt(5)
	v_mul_f32_e32 v11, v4, v36
	v_mul_f32_e32 v10, v5, v36
	s_waitcnt vmcnt(4)
	v_mul_f32_e32 v12, v3, v38
	v_fma_f32 v11, v5, v35, -v11
	v_mul_f32_e32 v5, v2, v38
	v_fmac_f32_e32 v10, v4, v35
	s_waitcnt vmcnt(1)
	v_mul_f32_e32 v15, v6, v42
	v_fmac_f32_e32 v12, v2, v37
	v_mul_f32_e32 v2, v7, v42
	s_waitcnt vmcnt(0)
	v_mul_f32_e32 v4, v9, v40
	v_mul_f32_e32 v16, v8, v40
	v_fma_f32 v13, v3, v37, -v5
	v_fma_f32 v3, v7, v41, -v15
	v_fmac_f32_e32 v2, v6, v41
	v_fmac_f32_e32 v4, v8, v39
	v_fma_f32 v5, v9, v39, -v16
	ds_write_b64 v46, v[12:13] offset:280
	ds_write2_b64 v46, v[10:11], v[2:3] offset1:14
	ds_write_b64 v46, v[4:5] offset:392
	s_and_saveexec_b32 s2, vcc_lo
	s_cbranch_execz .LBB0_3
; %bb.2:
	v_add_co_u32 v0, s0, v0, s0
	v_add_co_ci_u32_e64 v1, s0, s1, v1, s0
	v_add_co_u32 v2, s0, v0, s12
	v_add_co_ci_u32_e64 v3, s0, s13, v1, s0
	global_load_dwordx2 v[0:1], v[0:1], off
	s_clause 0x1
	global_load_dwordx2 v[4:5], v[33:34], off offset:224
	global_load_dwordx2 v[6:7], v[33:34], off offset:504
	global_load_dwordx2 v[2:3], v[2:3], off
	s_waitcnt vmcnt(2)
	v_mul_f32_e32 v8, v1, v5
	v_mul_f32_e32 v9, v0, v5
	s_waitcnt vmcnt(0)
	v_mul_f32_e32 v5, v3, v7
	v_mul_f32_e32 v7, v2, v7
	v_fmac_f32_e32 v8, v0, v4
	v_fma_f32 v9, v1, v4, -v9
	v_fmac_f32_e32 v5, v2, v6
	v_fma_f32 v6, v3, v6, -v7
	ds_write2_b64 v46, v[8:9], v[5:6] offset0:28 offset1:63
.LBB0_3:
	s_or_b32 exec_lo, exec_lo, s2
	s_load_dwordx2 s[2:3], s[4:5], 0x8
	s_waitcnt lgkmcnt(0)
	s_barrier
	buffer_gl0_inv
	ds_read2_b64 v[4:7], v46 offset1:14
	ds_read2_b64 v[8:11], v46 offset0:35 offset1:49
                                        ; implicit-def: $vgpr2
	s_and_saveexec_b32 s0, vcc_lo
	s_cbranch_execz .LBB0_5
; %bb.4:
	ds_read2_b64 v[0:3], v46 offset0:28 offset1:63
.LBB0_5:
	s_or_b32 exec_lo, exec_lo, s0
	s_waitcnt lgkmcnt(0)
	v_sub_f32_e32 v12, v4, v8
	v_lshlrev_b16 v15, 1, v45
	v_add_co_u32 v14, null, v45, 28
	v_sub_f32_e32 v13, v5, v9
	v_sub_f32_e32 v8, v6, v10
	v_fma_f32 v10, v4, 2.0, -v12
	v_and_b32_e32 v4, 0xffff, v15
	v_sub_f32_e32 v9, v7, v11
	v_fma_f32 v11, v5, 2.0, -v13
	v_sub_f32_e32 v22, v0, v2
	v_sub_f32_e32 v23, v1, v3
	v_lshl_add_u32 v51, v4, 3, v47
	v_lshl_add_u32 v52, v45, 4, v47
	;; [unrolled: 1-line block ×3, first 2 shown]
	v_fma_f32 v6, v6, 2.0, -v8
	v_fma_f32 v7, v7, 2.0, -v9
	s_barrier
	buffer_gl0_inv
	ds_write_b128 v51, v[10:13]
	ds_write_b128 v52, v[6:9] offset:224
	s_and_saveexec_b32 s0, vcc_lo
	s_cbranch_execz .LBB0_7
; %bb.6:
	v_fma_f32 v21, v1, 2.0, -v23
	v_fma_f32 v20, v0, 2.0, -v22
	ds_write_b128 v50, v[20:23]
.LBB0_7:
	s_or_b32 exec_lo, exec_lo, s0
	v_and_b32_e32 v18, 1, v45
	s_waitcnt lgkmcnt(0)
	s_barrier
	buffer_gl0_inv
	v_lshrrev_b32_e32 v19, 1, v45
	v_lshlrev_b32_e32 v0, 5, v18
	v_cmp_gt_u16_e64 s0, 10, v45
	s_clause 0x1
	global_load_dwordx4 v[4:7], v0, s[2:3]
	global_load_dwordx4 v[0:3], v0, s[2:3] offset:16
	ds_read2_b64 v[8:11], v46 offset1:14
	ds_read2_b64 v[12:15], v46 offset0:28 offset1:42
	ds_read_b64 v[16:17], v46 offset:448
	v_mul_u32_u24_e32 v19, 10, v19
	s_waitcnt vmcnt(0) lgkmcnt(0)
	s_barrier
	buffer_gl0_inv
	v_or_b32_e32 v18, v19, v18
	v_lshl_add_u32 v49, v18, 3, v47
	v_mul_f32_e32 v18, v11, v5
	v_mul_f32_e32 v19, v10, v5
	;; [unrolled: 1-line block ×8, first 2 shown]
	v_fma_f32 v10, v10, v4, -v18
	v_fmac_f32_e32 v19, v11, v4
	v_fma_f32 v11, v12, v6, -v20
	v_fmac_f32_e32 v21, v13, v6
	;; [unrolled: 2-line block ×3, first 2 shown]
	v_fmac_f32_e32 v25, v15, v0
	v_fma_f32 v13, v16, v2, -v26
	v_add_f32_e32 v29, v9, v19
	v_add_f32_e32 v15, v11, v12
	;; [unrolled: 1-line block ×6, first 2 shown]
	v_sub_f32_e32 v16, v19, v43
	v_sub_f32_e32 v17, v21, v25
	;; [unrolled: 1-line block ×9, first 2 shown]
	v_fma_f32 v20, -0.5, v15, v8
	v_fma_f32 v30, -0.5, v26, v8
	v_add_f32_e32 v15, v29, v21
	v_fma_f32 v21, -0.5, v31, v9
	v_fma_f32 v31, -0.5, v55, v9
	v_sub_f32_e32 v24, v13, v12
	v_sub_f32_e32 v54, v43, v25
	;; [unrolled: 1-line block ×3, first 2 shown]
	v_add_f32_e32 v11, v14, v11
	v_add_f32_e32 v8, v27, v28
	v_fmamk_f32 v26, v16, 0x3f737871, v20
	v_fmac_f32_e32 v20, 0xbf737871, v16
	v_fmamk_f32 v28, v17, 0xbf737871, v30
	v_fmac_f32_e32 v30, 0x3f737871, v17
	;; [unrolled: 2-line block ×4, first 2 shown]
	v_add_f32_e32 v14, v18, v24
	v_add_f32_e32 v18, v53, v54
	;; [unrolled: 1-line block ×5, first 2 shown]
	v_fmac_f32_e32 v26, 0x3f167918, v17
	v_fmac_f32_e32 v20, 0xbf167918, v17
	;; [unrolled: 1-line block ×8, first 2 shown]
	v_add_f32_e32 v24, v11, v13
	v_add_f32_e32 v25, v12, v43
	v_fmac_f32_e32 v26, 0x3e9e377a, v14
	v_fmac_f32_e32 v20, 0x3e9e377a, v14
	;; [unrolled: 1-line block ×8, first 2 shown]
	ds_write2_b64 v49, v[24:25], v[26:27] offset1:2
	ds_write2_b64 v49, v[28:29], v[30:31] offset0:4 offset1:6
	ds_write_b64 v49, v[20:21] offset:64
	s_waitcnt lgkmcnt(0)
	s_barrier
	buffer_gl0_inv
                                        ; implicit-def: $vgpr43
	s_and_saveexec_b32 s1, s0
	s_cbranch_execz .LBB0_9
; %bb.8:
	ds_read2_b64 v[24:27], v46 offset1:10
	ds_read2_b64 v[28:31], v46 offset0:20 offset1:30
	ds_read2_b64 v[20:23], v46 offset0:40 offset1:50
	ds_read_b64 v[43:44], v46 offset:480
.LBB0_9:
	s_or_b32 exec_lo, exec_lo, s1
	v_add_nc_u32_e32 v8, -10, v45
	v_cndmask_b32_e64 v8, v8, v45, s0
	v_mul_i32_i24_e32 v9, 48, v8
	v_mul_hi_i32_i24_e32 v8, 48, v8
	v_add_co_u32 v16, s1, s2, v9
	v_add_co_ci_u32_e64 v17, s1, s3, v8, s1
	s_clause 0x2
	global_load_dwordx4 v[12:15], v[16:17], off offset:64
	global_load_dwordx4 v[8:11], v[16:17], off offset:80
	global_load_dwordx4 v[16:19], v[16:17], off offset:96
	s_waitcnt vmcnt(2) lgkmcnt(3)
	v_mul_f32_e32 v53, v27, v13
	v_mul_f32_e32 v54, v26, v13
	s_waitcnt lgkmcnt(2)
	v_mul_f32_e32 v55, v29, v15
	v_mul_f32_e32 v56, v28, v15
	s_waitcnt vmcnt(1) lgkmcnt(1)
	v_mul_f32_e32 v60, v20, v11
	s_waitcnt vmcnt(0)
	v_mul_f32_e32 v61, v23, v17
	v_mul_f32_e32 v62, v22, v17
	s_waitcnt lgkmcnt(0)
	v_mul_f32_e32 v63, v44, v19
	v_mul_f32_e32 v64, v43, v19
	;; [unrolled: 1-line block ×5, first 2 shown]
	v_fma_f32 v26, v26, v12, -v53
	v_fmac_f32_e32 v54, v27, v12
	v_fma_f32 v27, v28, v14, -v55
	v_fmac_f32_e32 v56, v29, v14
	;; [unrolled: 2-line block ×3, first 2 shown]
	v_fmac_f32_e32 v60, v21, v10
	v_fma_f32 v21, v22, v16, -v61
	v_fmac_f32_e32 v62, v23, v16
	v_fma_f32 v28, v30, v8, -v57
	;; [unrolled: 2-line block ×3, first 2 shown]
	v_add_f32_e32 v22, v26, v29
	v_add_f32_e32 v23, v54, v64
	;; [unrolled: 1-line block ×4, first 2 shown]
	v_sub_f32_e32 v26, v26, v29
	v_sub_f32_e32 v29, v54, v64
	;; [unrolled: 1-line block ×4, first 2 shown]
	v_add_f32_e32 v43, v28, v20
	v_add_f32_e32 v44, v58, v60
	v_sub_f32_e32 v20, v20, v28
	v_sub_f32_e32 v28, v60, v58
	v_add_f32_e32 v53, v30, v22
	v_add_f32_e32 v54, v31, v23
	v_sub_f32_e32 v55, v30, v22
	v_sub_f32_e32 v56, v31, v23
	;; [unrolled: 1-line block ×6, first 2 shown]
	v_add_f32_e32 v57, v20, v21
	v_add_f32_e32 v58, v28, v27
	v_sub_f32_e32 v59, v20, v21
	v_sub_f32_e32 v60, v28, v27
	;; [unrolled: 1-line block ×4, first 2 shown]
	v_add_f32_e32 v43, v43, v53
	v_add_f32_e32 v44, v44, v54
	v_sub_f32_e32 v20, v26, v20
	v_sub_f32_e32 v61, v29, v28
	v_add_f32_e32 v53, v57, v26
	v_add_f32_e32 v54, v58, v29
	v_mul_f32_e32 v22, 0x3f4a47b2, v22
	v_mul_f32_e32 v23, 0x3f4a47b2, v23
	;; [unrolled: 1-line block ×8, first 2 shown]
	v_add_f32_e32 v24, v24, v43
	v_add_f32_e32 v25, v25, v44
	v_fmamk_f32 v60, v30, 0x3d64c772, v22
	v_fmamk_f32 v63, v31, 0x3d64c772, v23
	v_fma_f32 v64, 0x3f3bfb3b, v55, -v26
	v_fma_f32 v65, 0x3f3bfb3b, v56, -v27
	;; [unrolled: 1-line block ×4, first 2 shown]
	v_fmamk_f32 v27, v20, 0x3eae86e6, v29
	v_fmamk_f32 v28, v61, 0x3eae86e6, v57
	v_fma_f32 v29, 0x3f5ff5aa, v21, -v29
	v_fma_f32 v26, 0x3f5ff5aa, v62, -v57
	;; [unrolled: 1-line block ×4, first 2 shown]
	v_fmamk_f32 v20, v43, 0xbf955555, v24
	v_fmamk_f32 v21, v44, 0xbf955555, v25
	v_fmac_f32_e32 v27, 0x3ee1c552, v53
	v_fmac_f32_e32 v28, 0x3ee1c552, v54
	;; [unrolled: 1-line block ×6, first 2 shown]
	v_add_f32_e32 v54, v60, v20
	v_add_f32_e32 v53, v64, v20
	;; [unrolled: 1-line block ×7, first 2 shown]
	v_sub_f32_e32 v21, v57, v29
	v_sub_f32_e32 v22, v55, v31
	v_add_f32_e32 v23, v30, v58
	v_sub_f32_e32 v43, v54, v28
	v_add_f32_e32 v44, v27, v56
	s_and_saveexec_b32 s1, s0
	s_cbranch_execz .LBB0_11
; %bb.10:
	v_add_f32_e32 v29, v29, v57
	v_sub_f32_e32 v58, v58, v30
	v_add_f32_e32 v57, v31, v55
	v_sub_f32_e32 v31, v56, v27
	v_add_f32_e32 v30, v28, v54
	v_lshl_add_u32 v27, v45, 3, v47
	v_sub_f32_e32 v28, v53, v26
	ds_write_b64 v46, v[24:25]
	ds_write2_b64 v27, v[30:31], v[57:58] offset0:10 offset1:20
	ds_write2_b64 v27, v[28:29], v[20:21] offset0:30 offset1:40
	;; [unrolled: 1-line block ×3, first 2 shown]
.LBB0_11:
	s_or_b32 exec_lo, exec_lo, s1
	s_add_u32 s2, s16, 0x230
	s_addc_u32 s3, s17, 0
	s_waitcnt lgkmcnt(0)
	s_barrier
	buffer_gl0_inv
	s_clause 0x3
	global_load_dwordx2 v[53:54], v[33:34], off offset:560
	global_load_dwordx2 v[55:56], v48, s[2:3] offset:280
	global_load_dwordx2 v[57:58], v48, s[2:3] offset:392
	;; [unrolled: 1-line block ×3, first 2 shown]
	ds_read2_b64 v[24:27], v46 offset1:14
	ds_read2_b64 v[28:31], v46 offset0:35 offset1:49
	s_waitcnt vmcnt(3) lgkmcnt(1)
	v_mul_f32_e32 v62, v25, v54
	v_mul_f32_e32 v61, v24, v54
	s_waitcnt vmcnt(2) lgkmcnt(0)
	v_mul_f32_e32 v64, v29, v56
	v_mul_f32_e32 v54, v28, v56
	s_waitcnt vmcnt(0)
	v_mul_f32_e32 v65, v27, v60
	v_mul_f32_e32 v56, v26, v60
	;; [unrolled: 1-line block ×4, first 2 shown]
	v_fma_f32 v60, v24, v53, -v62
	v_fmac_f32_e32 v61, v25, v53
	v_fma_f32 v53, v28, v55, -v64
	v_fmac_f32_e32 v54, v29, v55
	;; [unrolled: 2-line block ×4, first 2 shown]
	ds_write2_b64 v46, v[60:61], v[55:56] offset1:14
	ds_write2_b64 v46, v[53:54], v[62:63] offset0:35 offset1:49
	s_and_saveexec_b32 s1, vcc_lo
	s_cbranch_execz .LBB0_13
; %bb.12:
	v_add_co_u32 v24, s2, s2, v48
	v_add_co_ci_u32_e64 v25, null, s3, 0, s2
	s_clause 0x1
	global_load_dwordx2 v[28:29], v[24:25], off offset:224
	global_load_dwordx2 v[30:31], v[24:25], off offset:504
	ds_read2_b64 v[24:27], v46 offset0:28 offset1:63
	s_waitcnt vmcnt(1) lgkmcnt(0)
	v_mul_f32_e32 v48, v25, v29
	v_mul_f32_e32 v54, v24, v29
	s_waitcnt vmcnt(0)
	v_mul_f32_e32 v55, v27, v31
	v_mul_f32_e32 v29, v26, v31
	v_fma_f32 v53, v24, v28, -v48
	v_fmac_f32_e32 v54, v25, v28
	v_fma_f32 v28, v26, v30, -v55
	v_fmac_f32_e32 v29, v27, v30
	ds_write2_b64 v46, v[53:54], v[28:29] offset0:28 offset1:63
.LBB0_13:
	s_or_b32 exec_lo, exec_lo, s1
	s_waitcnt lgkmcnt(0)
	s_barrier
	buffer_gl0_inv
	ds_read2_b64 v[24:27], v46 offset1:14
	ds_read2_b64 v[28:31], v46 offset0:35 offset1:49
	v_add_nc_u32_e32 v48, 0xe0, v52
	s_and_saveexec_b32 s1, vcc_lo
	s_cbranch_execz .LBB0_15
; %bb.14:
	ds_read2_b64 v[20:23], v46 offset0:28 offset1:63
.LBB0_15:
	s_or_b32 exec_lo, exec_lo, s1
	s_waitcnt lgkmcnt(0)
	v_sub_f32_e32 v54, v24, v28
	v_sub_f32_e32 v55, v25, v29
	;; [unrolled: 1-line block ×5, first 2 shown]
	v_fma_f32 v52, v24, 2.0, -v54
	v_fma_f32 v53, v25, 2.0, -v55
	v_sub_f32_e32 v23, v21, v23
	v_fma_f32 v26, v26, 2.0, -v28
	v_fma_f32 v27, v27, 2.0, -v29
	s_barrier
	buffer_gl0_inv
	ds_write_b128 v51, v[52:55]
	ds_write_b128 v48, v[26:29]
	s_and_saveexec_b32 s1, vcc_lo
	s_cbranch_execz .LBB0_17
; %bb.16:
	v_fma_f32 v21, v21, 2.0, -v23
	v_fma_f32 v20, v20, 2.0, -v22
	ds_write_b128 v50, v[20:23]
.LBB0_17:
	s_or_b32 exec_lo, exec_lo, s1
	s_waitcnt lgkmcnt(0)
	s_barrier
	buffer_gl0_inv
	ds_read2_b64 v[24:27], v46 offset1:14
	ds_read2_b64 v[28:31], v46 offset0:28 offset1:42
	ds_read_b64 v[20:21], v46 offset:448
	s_waitcnt lgkmcnt(0)
	s_barrier
	buffer_gl0_inv
	v_mul_f32_e32 v48, v5, v27
	v_mul_f32_e32 v50, v7, v29
	;; [unrolled: 1-line block ×7, first 2 shown]
	v_fmac_f32_e32 v48, v4, v26
	v_fmac_f32_e32 v50, v6, v28
	;; [unrolled: 1-line block ×4, first 2 shown]
	v_mul_f32_e32 v3, v3, v20
	v_fma_f32 v26, v4, v27, -v5
	v_fma_f32 v27, v6, v29, -v7
	;; [unrolled: 1-line block ×3, first 2 shown]
	v_sub_f32_e32 v4, v48, v50
	v_sub_f32_e32 v6, v52, v51
	v_add_f32_e32 v7, v48, v52
	v_fma_f32 v28, v2, v21, -v3
	v_add_f32_e32 v2, v50, v51
	v_sub_f32_e32 v5, v27, v1
	v_add_f32_e32 v53, v4, v6
	v_fma_f32 v6, -0.5, v7, v24
	v_sub_f32_e32 v3, v26, v28
	v_sub_f32_e32 v21, v50, v48
	;; [unrolled: 1-line block ×3, first 2 shown]
	v_fma_f32 v20, -0.5, v2, v24
	v_fmamk_f32 v4, v5, 0x3f737871, v6
	v_fmac_f32_e32 v6, 0xbf737871, v5
	v_add_f32_e32 v0, v24, v48
	v_add_f32_e32 v30, v25, v26
	;; [unrolled: 1-line block ×4, first 2 shown]
	v_fmamk_f32 v2, v3, 0xbf737871, v20
	v_fmac_f32_e32 v20, 0x3f737871, v3
	v_fmac_f32_e32 v4, 0xbf167918, v3
	;; [unrolled: 1-line block ×3, first 2 shown]
	v_add_f32_e32 v24, v26, v28
	v_sub_f32_e32 v48, v48, v52
	v_fma_f32 v21, -0.5, v31, v25
	v_fmac_f32_e32 v2, 0xbf167918, v5
	v_fmac_f32_e32 v20, 0x3f167918, v5
	v_add_f32_e32 v5, v30, v27
	v_sub_f32_e32 v29, v50, v51
	v_fmac_f32_e32 v4, 0x3e9e377a, v7
	v_fmac_f32_e32 v6, 0x3e9e377a, v7
	v_fma_f32 v7, -0.5, v24, v25
	v_add_f32_e32 v0, v0, v50
	v_fmamk_f32 v3, v48, 0x3f737871, v21
	v_add_f32_e32 v30, v5, v1
	v_sub_f32_e32 v24, v26, v27
	v_sub_f32_e32 v25, v28, v1
	v_fmac_f32_e32 v21, 0xbf737871, v48
	v_fmamk_f32 v5, v29, 0xbf737871, v7
	v_sub_f32_e32 v26, v27, v26
	v_sub_f32_e32 v1, v1, v28
	v_fmac_f32_e32 v7, 0x3f737871, v29
	v_add_f32_e32 v0, v0, v51
	v_fmac_f32_e32 v3, 0x3f167918, v29
	v_add_f32_e32 v24, v24, v25
	v_fmac_f32_e32 v21, 0xbf167918, v29
	v_fmac_f32_e32 v5, 0x3f167918, v48
	v_add_f32_e32 v25, v26, v1
	v_fmac_f32_e32 v7, 0xbf167918, v48
	v_add_f32_e32 v0, v0, v52
	v_fmac_f32_e32 v2, 0x3e9e377a, v53
	v_fmac_f32_e32 v20, 0x3e9e377a, v53
	v_add_f32_e32 v1, v30, v28
	v_fmac_f32_e32 v3, 0x3e9e377a, v24
	v_fmac_f32_e32 v21, 0x3e9e377a, v24
	;; [unrolled: 1-line block ×4, first 2 shown]
	ds_write2_b64 v49, v[0:1], v[2:3] offset1:2
	ds_write2_b64 v49, v[4:5], v[6:7] offset0:4 offset1:6
	ds_write_b64 v49, v[20:21] offset:64
	s_waitcnt lgkmcnt(0)
	s_barrier
	buffer_gl0_inv
	s_and_saveexec_b32 s1, s0
	s_cbranch_execz .LBB0_19
; %bb.18:
	ds_read2_b64 v[0:3], v46 offset1:10
	ds_read2_b64 v[4:7], v46 offset0:20 offset1:30
	ds_read2_b64 v[20:23], v46 offset0:40 offset1:50
	ds_read_b64 v[43:44], v46 offset:480
.LBB0_19:
	s_or_b32 exec_lo, exec_lo, s1
	s_and_saveexec_b32 s1, s0
	s_cbranch_execz .LBB0_21
; %bb.20:
	s_waitcnt lgkmcnt(3)
	v_mul_f32_e32 v26, v13, v3
	s_waitcnt lgkmcnt(2)
	v_mul_f32_e32 v25, v9, v7
	;; [unrolled: 2-line block ×3, first 2 shown]
	v_mul_f32_e32 v28, v15, v5
	v_mul_f32_e32 v24, v11, v21
	v_fmac_f32_e32 v26, v12, v2
	v_mul_f32_e32 v2, v13, v2
	v_mul_f32_e32 v13, v17, v23
	v_fmac_f32_e32 v25, v8, v6
	v_mul_f32_e32 v19, v19, v43
	v_fmac_f32_e32 v27, v18, v43
	v_fmac_f32_e32 v28, v14, v4
	v_mul_f32_e32 v17, v17, v22
	v_mul_f32_e32 v4, v15, v4
	v_fma_f32 v2, v12, v3, -v2
	v_mul_f32_e32 v3, v9, v6
	v_mul_f32_e32 v6, v11, v20
	v_fmac_f32_e32 v13, v16, v22
	v_fmac_f32_e32 v24, v10, v20
	v_fma_f32 v18, v18, v44, -v19
	v_fma_f32 v9, v16, v23, -v17
	;; [unrolled: 1-line block ×5, first 2 shown]
	v_sub_f32_e32 v8, v28, v13
	v_add_f32_e32 v21, v27, v26
	v_add_f32_e32 v13, v13, v28
	;; [unrolled: 1-line block ×5, first 2 shown]
	v_sub_f32_e32 v29, v24, v25
	v_add_f32_e32 v23, v13, v21
	v_add_f32_e32 v10, v3, v5
	v_sub_f32_e32 v11, v26, v27
	v_add_f32_e32 v12, v7, v6
	v_sub_f32_e32 v5, v5, v3
	v_sub_f32_e32 v4, v4, v9
	;; [unrolled: 1-line block ×3, first 2 shown]
	v_add_f32_e32 v23, v22, v23
	v_sub_f32_e32 v2, v2, v18
	v_sub_f32_e32 v14, v29, v8
	;; [unrolled: 1-line block ×3, first 2 shown]
	v_add_f32_e32 v12, v10, v12
	v_add_f32_e32 v17, v29, v8
	v_sub_f32_e32 v18, v5, v4
	v_mul_f32_e32 v9, 0x3f4a47b2, v9
	v_sub_f32_e32 v22, v22, v13
	v_add_f32_e32 v0, v0, v23
	v_sub_f32_e32 v24, v2, v5
	v_add_f32_e32 v5, v5, v4
	v_sub_f32_e32 v8, v8, v11
	v_sub_f32_e32 v16, v11, v29
	v_mul_f32_e32 v15, 0x3f4a47b2, v15
	v_add_f32_e32 v1, v1, v12
	v_add_f32_e32 v17, v17, v11
	v_fmamk_f32 v11, v22, 0x3d64c772, v9
	v_fmamk_f32 v23, v23, 0xbf955555, v0
	v_add_f32_e32 v26, v5, v2
	v_mul_f32_e32 v5, 0xbf5ff5aa, v8
	v_sub_f32_e32 v6, v7, v6
	v_sub_f32_e32 v10, v10, v7
	v_fmamk_f32 v12, v12, 0xbf955555, v1
	v_mul_f32_e32 v7, 0x3d64c772, v22
	v_add_f32_e32 v22, v11, v23
	v_fma_f32 v11, 0x3eae86e6, v16, -v5
	v_fma_f32 v5, 0xbf3bfb3b, v6, -v15
	v_sub_f32_e32 v4, v4, v2
	v_mul_f32_e32 v14, 0x3f08b237, v14
	v_fmamk_f32 v20, v10, 0x3d64c772, v15
	v_mul_f32_e32 v10, 0x3d64c772, v10
	v_mul_f32_e32 v18, 0x3f08b237, v18
	v_sub_f32_e32 v13, v13, v21
	v_add_f32_e32 v15, v5, v12
	v_mul_f32_e32 v5, 0xbf5ff5aa, v4
	v_fmamk_f32 v19, v16, 0xbeae86e6, v14
	v_fmamk_f32 v25, v24, 0xbeae86e6, v18
	v_fma_f32 v9, 0xbf3bfb3b, v13, -v9
	v_fma_f32 v6, 0x3f3bfb3b, v6, -v10
	;; [unrolled: 1-line block ×6, first 2 shown]
	v_fmac_f32_e32 v19, 0xbee1c552, v17
	v_add_f32_e32 v20, v20, v12
	v_fmac_f32_e32 v25, 0xbee1c552, v26
	v_fmac_f32_e32 v11, 0xbee1c552, v17
	v_add_f32_e32 v10, v6, v12
	v_fmac_f32_e32 v8, 0xbee1c552, v17
	v_add_f32_e32 v17, v9, v23
	v_fmac_f32_e32 v14, 0xbee1c552, v26
	v_fmac_f32_e32 v4, 0xbee1c552, v26
	v_add_f32_e32 v16, v7, v23
	v_add_f32_e32 v5, v11, v15
	v_sub_f32_e32 v7, v10, v8
	v_add_f32_e32 v9, v8, v10
	v_sub_f32_e32 v11, v15, v11
	;; [unrolled: 2-line block ×3, first 2 shown]
	v_add_f32_e32 v12, v25, v22
	v_lshl_add_u32 v15, v45, 3, v47
	v_add_f32_e32 v6, v4, v16
	v_sub_f32_e32 v8, v16, v4
	v_add_f32_e32 v3, v19, v20
	v_sub_f32_e32 v2, v22, v25
	v_sub_f32_e32 v4, v17, v14
	ds_write_b64 v46, v[0:1]
	ds_write2_b64 v15, v[12:13], v[10:11] offset0:10 offset1:20
	ds_write2_b64 v15, v[8:9], v[6:7] offset0:30 offset1:40
	;; [unrolled: 1-line block ×3, first 2 shown]
.LBB0_21:
	s_or_b32 exec_lo, exec_lo, s1
	s_waitcnt lgkmcnt(0)
	s_barrier
	buffer_gl0_inv
	ds_read2_b64 v[0:3], v46 offset1:14
	ds_read2_b64 v[4:7], v46 offset0:35 offset1:49
	v_mad_u64_u32 v[8:9], null, s10, v32, 0
	v_mad_u64_u32 v[18:19], null, s8, v45, 0
	s_mov_b32 s2, 0x1d41d41d
	s_mov_b32 s3, 0x3f8d41d4
	s_mul_i32 s1, s9, 35
	s_mul_hi_u32 s4, s8, 35
	s_mul_i32 s0, s8, 35
	s_mul_hi_u32 s5, s8, 0xffffffeb
	s_add_i32 s1, s4, s1
	s_mul_i32 s10, s8, 0xffffffeb
	s_sub_i32 s8, s5, s8
	s_lshl_b64 s[4:5], s[0:1], 3
	s_waitcnt lgkmcnt(1)
	v_mul_f32_e32 v10, v36, v1
	v_mul_f32_e32 v11, v36, v0
	;; [unrolled: 1-line block ×3, first 2 shown]
	s_waitcnt lgkmcnt(0)
	v_mul_f32_e32 v12, v38, v5
	v_mul_f32_e32 v15, v42, v2
	v_fmac_f32_e32 v10, v35, v0
	v_fma_f32 v11, v35, v1, -v11
	v_fmac_f32_e32 v14, v41, v2
	v_mul_f32_e32 v13, v38, v4
	v_mul_f32_e32 v16, v40, v7
	;; [unrolled: 1-line block ×3, first 2 shown]
	v_fmac_f32_e32 v12, v37, v4
	v_fma_f32 v15, v41, v3, -v15
	v_cvt_f64_f32_e32 v[0:1], v10
	v_cvt_f64_f32_e32 v[2:3], v11
	;; [unrolled: 1-line block ×3, first 2 shown]
	v_fma_f32 v13, v37, v5, -v13
	v_fmac_f32_e32 v16, v39, v6
	v_fma_f32 v17, v39, v7, -v17
	v_cvt_f64_f32_e32 v[4:5], v12
	v_cvt_f64_f32_e32 v[6:7], v13
	;; [unrolled: 1-line block ×5, first 2 shown]
	v_mul_f64 v[0:1], v[0:1], s[2:3]
	v_mul_f64 v[2:3], v[2:3], s[2:3]
	v_mad_u64_u32 v[20:21], null, s11, v32, v[9:10]
	v_mul_f64 v[10:11], v[10:11], s[2:3]
	v_mul_f64 v[4:5], v[4:5], s[2:3]
	;; [unrolled: 1-line block ×4, first 2 shown]
	v_mad_u64_u32 v[21:22], null, s9, v45, v[19:20]
	v_mul_f64 v[14:15], v[14:15], s[2:3]
	v_mul_f64 v[16:17], v[16:17], s[2:3]
	v_mov_b32_e32 v9, v20
	s_mulk_i32 s9, 0xffeb
	s_add_i32 s11, s8, s9
	v_mov_b32_e32 v19, v21
	v_lshlrev_b64 v[8:9], 3, v[8:9]
	v_lshlrev_b64 v[18:19], 3, v[18:19]
	v_add_co_u32 v20, s0, s6, v8
	v_add_co_ci_u32_e64 v21, s0, s7, v9, s0
	v_cvt_f32_f64_e32 v8, v[0:1]
	v_cvt_f32_f64_e32 v9, v[2:3]
	;; [unrolled: 1-line block ×4, first 2 shown]
	v_add_co_u32 v10, s0, v20, v18
	v_cvt_f32_f64_e32 v3, v[6:7]
	v_cvt_f32_f64_e32 v5, v[12:13]
	v_add_co_ci_u32_e64 v11, s0, v21, v19, s0
	v_cvt_f32_f64_e32 v6, v[14:15]
	v_cvt_f32_f64_e32 v7, v[16:17]
	v_add_co_u32 v12, s0, v10, s4
	v_add_co_ci_u32_e64 v13, s0, s5, v11, s0
	s_lshl_b64 s[6:7], s[10:11], 3
	v_add_co_u32 v14, s0, v12, s6
	v_add_co_ci_u32_e64 v15, s0, s7, v13, s0
	v_add_co_u32 v0, s0, v14, s4
	v_add_co_ci_u32_e64 v1, s0, s5, v15, s0
	global_store_dwordx2 v[10:11], v[8:9], off
	global_store_dwordx2 v[12:13], v[2:3], off
	;; [unrolled: 1-line block ×4, first 2 shown]
	s_and_b32 exec_lo, exec_lo, vcc_lo
	s_cbranch_execz .LBB0_23
; %bb.22:
	s_clause 0x1
	global_load_dwordx2 v[6:7], v[33:34], off offset:224
	global_load_dwordx2 v[8:9], v[33:34], off offset:504
	ds_read2_b64 v[2:5], v46 offset0:28 offset1:63
	v_add_co_u32 v0, vcc_lo, v0, s6
	v_add_co_ci_u32_e32 v1, vcc_lo, s7, v1, vcc_lo
	s_waitcnt vmcnt(1) lgkmcnt(0)
	v_mul_f32_e32 v10, v3, v7
	v_mul_f32_e32 v7, v2, v7
	s_waitcnt vmcnt(0)
	v_mul_f32_e32 v11, v5, v9
	v_mul_f32_e32 v9, v4, v9
	v_fmac_f32_e32 v10, v2, v6
	v_fma_f32 v6, v6, v3, -v7
	v_fmac_f32_e32 v11, v4, v8
	v_fma_f32 v8, v8, v5, -v9
	v_cvt_f64_f32_e32 v[2:3], v10
	v_cvt_f64_f32_e32 v[4:5], v6
	;; [unrolled: 1-line block ×4, first 2 shown]
	v_mul_f64 v[2:3], v[2:3], s[2:3]
	v_mul_f64 v[4:5], v[4:5], s[2:3]
	;; [unrolled: 1-line block ×4, first 2 shown]
	v_cvt_f32_f64_e32 v2, v[2:3]
	v_cvt_f32_f64_e32 v3, v[4:5]
	;; [unrolled: 1-line block ×4, first 2 shown]
	v_add_co_u32 v6, vcc_lo, v0, s4
	v_add_co_ci_u32_e32 v7, vcc_lo, s5, v1, vcc_lo
	global_store_dwordx2 v[0:1], v[2:3], off
	global_store_dwordx2 v[6:7], v[4:5], off
.LBB0_23:
	s_endpgm
	.section	.rodata,"a",@progbits
	.p2align	6, 0x0
	.amdhsa_kernel bluestein_single_fwd_len70_dim1_sp_op_CI_CI
		.amdhsa_group_segment_fixed_size 10080
		.amdhsa_private_segment_fixed_size 0
		.amdhsa_kernarg_size 104
		.amdhsa_user_sgpr_count 6
		.amdhsa_user_sgpr_private_segment_buffer 1
		.amdhsa_user_sgpr_dispatch_ptr 0
		.amdhsa_user_sgpr_queue_ptr 0
		.amdhsa_user_sgpr_kernarg_segment_ptr 1
		.amdhsa_user_sgpr_dispatch_id 0
		.amdhsa_user_sgpr_flat_scratch_init 0
		.amdhsa_user_sgpr_private_segment_size 0
		.amdhsa_wavefront_size32 1
		.amdhsa_uses_dynamic_stack 0
		.amdhsa_system_sgpr_private_segment_wavefront_offset 0
		.amdhsa_system_sgpr_workgroup_id_x 1
		.amdhsa_system_sgpr_workgroup_id_y 0
		.amdhsa_system_sgpr_workgroup_id_z 0
		.amdhsa_system_sgpr_workgroup_info 0
		.amdhsa_system_vgpr_workitem_id 0
		.amdhsa_next_free_vgpr 67
		.amdhsa_next_free_sgpr 18
		.amdhsa_reserve_vcc 1
		.amdhsa_reserve_flat_scratch 0
		.amdhsa_float_round_mode_32 0
		.amdhsa_float_round_mode_16_64 0
		.amdhsa_float_denorm_mode_32 3
		.amdhsa_float_denorm_mode_16_64 3
		.amdhsa_dx10_clamp 1
		.amdhsa_ieee_mode 1
		.amdhsa_fp16_overflow 0
		.amdhsa_workgroup_processor_mode 1
		.amdhsa_memory_ordered 1
		.amdhsa_forward_progress 0
		.amdhsa_shared_vgpr_count 0
		.amdhsa_exception_fp_ieee_invalid_op 0
		.amdhsa_exception_fp_denorm_src 0
		.amdhsa_exception_fp_ieee_div_zero 0
		.amdhsa_exception_fp_ieee_overflow 0
		.amdhsa_exception_fp_ieee_underflow 0
		.amdhsa_exception_fp_ieee_inexact 0
		.amdhsa_exception_int_div_zero 0
	.end_amdhsa_kernel
	.text
.Lfunc_end0:
	.size	bluestein_single_fwd_len70_dim1_sp_op_CI_CI, .Lfunc_end0-bluestein_single_fwd_len70_dim1_sp_op_CI_CI
                                        ; -- End function
	.section	.AMDGPU.csdata,"",@progbits
; Kernel info:
; codeLenInByte = 4628
; NumSgprs: 20
; NumVgprs: 67
; ScratchSize: 0
; MemoryBound: 0
; FloatMode: 240
; IeeeMode: 1
; LDSByteSize: 10080 bytes/workgroup (compile time only)
; SGPRBlocks: 2
; VGPRBlocks: 8
; NumSGPRsForWavesPerEU: 20
; NumVGPRsForWavesPerEU: 67
; Occupancy: 12
; WaveLimiterHint : 1
; COMPUTE_PGM_RSRC2:SCRATCH_EN: 0
; COMPUTE_PGM_RSRC2:USER_SGPR: 6
; COMPUTE_PGM_RSRC2:TRAP_HANDLER: 0
; COMPUTE_PGM_RSRC2:TGID_X_EN: 1
; COMPUTE_PGM_RSRC2:TGID_Y_EN: 0
; COMPUTE_PGM_RSRC2:TGID_Z_EN: 0
; COMPUTE_PGM_RSRC2:TIDIG_COMP_CNT: 0
	.text
	.p2alignl 6, 3214868480
	.fill 48, 4, 3214868480
	.type	__hip_cuid_e6dff9913093f3e,@object ; @__hip_cuid_e6dff9913093f3e
	.section	.bss,"aw",@nobits
	.globl	__hip_cuid_e6dff9913093f3e
__hip_cuid_e6dff9913093f3e:
	.byte	0                               ; 0x0
	.size	__hip_cuid_e6dff9913093f3e, 1

	.ident	"AMD clang version 19.0.0git (https://github.com/RadeonOpenCompute/llvm-project roc-6.4.0 25133 c7fe45cf4b819c5991fe208aaa96edf142730f1d)"
	.section	".note.GNU-stack","",@progbits
	.addrsig
	.addrsig_sym __hip_cuid_e6dff9913093f3e
	.amdgpu_metadata
---
amdhsa.kernels:
  - .args:
      - .actual_access:  read_only
        .address_space:  global
        .offset:         0
        .size:           8
        .value_kind:     global_buffer
      - .actual_access:  read_only
        .address_space:  global
        .offset:         8
        .size:           8
        .value_kind:     global_buffer
      - .actual_access:  read_only
        .address_space:  global
        .offset:         16
        .size:           8
        .value_kind:     global_buffer
      - .actual_access:  read_only
        .address_space:  global
        .offset:         24
        .size:           8
        .value_kind:     global_buffer
      - .actual_access:  read_only
        .address_space:  global
        .offset:         32
        .size:           8
        .value_kind:     global_buffer
      - .offset:         40
        .size:           8
        .value_kind:     by_value
      - .address_space:  global
        .offset:         48
        .size:           8
        .value_kind:     global_buffer
      - .address_space:  global
        .offset:         56
        .size:           8
        .value_kind:     global_buffer
      - .address_space:  global
        .offset:         64
        .size:           8
        .value_kind:     global_buffer
      - .address_space:  global
        .offset:         72
        .size:           8
        .value_kind:     global_buffer
      - .offset:         80
        .size:           4
        .value_kind:     by_value
      - .address_space:  global
        .offset:         88
        .size:           8
        .value_kind:     global_buffer
      - .address_space:  global
        .offset:         96
        .size:           8
        .value_kind:     global_buffer
    .group_segment_fixed_size: 10080
    .kernarg_segment_align: 8
    .kernarg_segment_size: 104
    .language:       OpenCL C
    .language_version:
      - 2
      - 0
    .max_flat_workgroup_size: 252
    .name:           bluestein_single_fwd_len70_dim1_sp_op_CI_CI
    .private_segment_fixed_size: 0
    .sgpr_count:     20
    .sgpr_spill_count: 0
    .symbol:         bluestein_single_fwd_len70_dim1_sp_op_CI_CI.kd
    .uniform_work_group_size: 1
    .uses_dynamic_stack: false
    .vgpr_count:     67
    .vgpr_spill_count: 0
    .wavefront_size: 32
    .workgroup_processor_mode: 1
amdhsa.target:   amdgcn-amd-amdhsa--gfx1030
amdhsa.version:
  - 1
  - 2
...

	.end_amdgpu_metadata
